;; amdgpu-corpus repo=FlagOpen/FlagGems kind=triton arch=gfx950 opt=O3 lang=triton
	.amdgcn_target "amdgcn-amd-amdhsa--gfx950"
	.amdhsa_code_object_version 5
	.text
	.globl	gemma_rms_norm_kernel           ; -- Begin function gemma_rms_norm_kernel
	.p2align	8
	.type	gemma_rms_norm_kernel,@function
gemma_rms_norm_kernel:                  ; @gemma_rms_norm_kernel
.Lfunc_begin0:
	.cfi_sections .debug_frame
	.cfi_startproc
; %bb.41:
	.file	1 "/root/src/amdgpu-assembly/repos/FlagOpen__FlagGems/triton_aot_kernels" "gemma_rms_norm_aot.py"
	.loc	1 8 0 prologue_end              ; gemma_rms_norm_aot.py:8:0
	s_load_dwordx2 s[2:3], s[0:1], 0x0
	s_load_dwordx8 s[4:11], s[0:1], 0x8
	s_load_dwordx4 s[12:15], s[0:1], 0x28
	s_waitcnt lgkmcnt(0)
	s_branch .LBB0_0
	.loc	1 0 0 is_stmt 0                 ; :0:0
.Ltmp0:
	.p2align	8
; %bb.42:
.LBB0_0:
.Ltmp1:
	.loc	1 30 20 is_stmt 1               ; gemma_rms_norm_aot.py:30:20
	s_mul_i32 s0, s12, s16
	.loc	1 30 14 is_stmt 0               ; gemma_rms_norm_aot.py:30:14
	s_ashr_i32 s1, s0, 31
	s_lshl_b64 s[0:1], s[0:1], 1
	.loc	1 44 28 is_stmt 1               ; gemma_rms_norm_aot.py:44:28
	v_readfirstlane_b32 s33, v0
	.loc	1 30 14                         ; gemma_rms_norm_aot.py:30:14
	s_add_u32 s30, s6, s0
	s_addc_u32 s31, s7, s1
	.loc	1 32 24                         ; gemma_rms_norm_aot.py:32:24
	v_and_b32_e32 v10, 63, v0
	s_and_b32 s0, s33, 0xc0
	v_or_b32_e32 v1, s0, v10
	.loc	1 34 44                         ; gemma_rms_norm_aot.py:34:44
	v_mov_b32_e32 v3, 0
	s_mov_b32 s17, s11
	.loc	1 32 38                         ; gemma_rms_norm_aot.py:32:38
	v_cmp_gt_i32_e64 s[0:1], s14, v1
	v_mov_b32_e32 v2, v3
	.loc	1 34 44                         ; gemma_rms_norm_aot.py:34:44
	s_and_saveexec_b64 s[6:7], s[0:1]
	s_cbranch_execz .LBB0_2
; %bb.1:
	.loc	1 0 44 is_stmt 0                ; gemma_rms_norm_aot.py:0:44
	v_mul_lo_u32 v4, v1, s13
	v_ashrrev_i32_e32 v5, 31, v4
	v_lshl_add_u64 v[4:5], v[4:5], 1, s[30:31]
	.loc	1 34 44                         ; gemma_rms_norm_aot.py:34:44
	global_load_ushort v2, v[4:5], off
.LBB0_2:
	.loc	1 0 44                          ; gemma_rms_norm_aot.py:0:44
	s_or_b64 exec, exec, s[6:7]
	.loc	1 32 24 is_stmt 1               ; gemma_rms_norm_aot.py:32:24
	v_or_b32_e32 v12, 0x100, v1
	.loc	1 32 38 is_stmt 0               ; gemma_rms_norm_aot.py:32:38
	v_cmp_gt_i32_e64 s[6:7], s14, v12
	.loc	1 34 44 is_stmt 1               ; gemma_rms_norm_aot.py:34:44
	s_and_saveexec_b64 s[18:19], s[6:7]
	s_cbranch_execz .LBB0_4
; %bb.3:
	.loc	1 34 32 is_stmt 0               ; gemma_rms_norm_aot.py:34:32
	v_mul_lo_u32 v4, v12, s13
	.loc	1 34 25                         ; gemma_rms_norm_aot.py:34:25
	v_ashrrev_i32_e32 v5, 31, v4
	v_lshl_add_u64 v[4:5], v[4:5], 1, s[30:31]
	.loc	1 34 44                         ; gemma_rms_norm_aot.py:34:44
	global_load_ushort v3, v[4:5], off
.LBB0_4:
	.loc	1 0 44                          ; gemma_rms_norm_aot.py:0:44
	s_or_b64 exec, exec, s[18:19]
	.loc	1 32 24 is_stmt 1               ; gemma_rms_norm_aot.py:32:24
	v_or_b32_e32 v11, 0x200, v1
	.loc	1 34 44                         ; gemma_rms_norm_aot.py:34:44
	v_mov_b32_e32 v5, 0
	.loc	1 32 38                         ; gemma_rms_norm_aot.py:32:38
	v_cmp_gt_i32_e64 s[24:25], s14, v11
	v_mov_b32_e32 v4, v5
	.loc	1 34 44                         ; gemma_rms_norm_aot.py:34:44
	s_and_saveexec_b64 s[18:19], s[24:25]
	s_cbranch_execz .LBB0_6
; %bb.5:
	.loc	1 34 32 is_stmt 0               ; gemma_rms_norm_aot.py:34:32
	v_mul_lo_u32 v6, v11, s13
	.loc	1 34 25                         ; gemma_rms_norm_aot.py:34:25
	v_ashrrev_i32_e32 v7, 31, v6
	v_lshl_add_u64 v[6:7], v[6:7], 1, s[30:31]
	.loc	1 34 44                         ; gemma_rms_norm_aot.py:34:44
	global_load_ushort v4, v[6:7], off
.LBB0_6:
	.loc	1 0 44                          ; gemma_rms_norm_aot.py:0:44
	s_or_b64 exec, exec, s[18:19]
	.loc	1 32 24 is_stmt 1               ; gemma_rms_norm_aot.py:32:24
	v_or_b32_e32 v14, 0x300, v1
	.loc	1 32 38 is_stmt 0               ; gemma_rms_norm_aot.py:32:38
	v_cmp_gt_i32_e64 s[26:27], s14, v14
	.loc	1 34 44 is_stmt 1               ; gemma_rms_norm_aot.py:34:44
	s_and_saveexec_b64 s[18:19], s[26:27]
	s_cbranch_execz .LBB0_8
; %bb.7:
	.loc	1 34 32 is_stmt 0               ; gemma_rms_norm_aot.py:34:32
	v_mul_lo_u32 v6, v14, s13
	.loc	1 34 25                         ; gemma_rms_norm_aot.py:34:25
	v_ashrrev_i32_e32 v7, 31, v6
	v_lshl_add_u64 v[6:7], v[6:7], 1, s[30:31]
	.loc	1 34 44                         ; gemma_rms_norm_aot.py:34:44
	global_load_ushort v5, v[6:7], off
.LBB0_8:
	.loc	1 0 44                          ; gemma_rms_norm_aot.py:0:44
	s_or_b64 exec, exec, s[18:19]
	.loc	1 32 24 is_stmt 1               ; gemma_rms_norm_aot.py:32:24
	v_or_b32_e32 v13, 0x400, v1
	.loc	1 34 44                         ; gemma_rms_norm_aot.py:34:44
	v_mov_b32_e32 v19, 0
	.loc	1 32 38                         ; gemma_rms_norm_aot.py:32:38
	v_cmp_gt_i32_e64 s[28:29], s14, v13
	v_mov_b32_e32 v18, v19
	.loc	1 34 44                         ; gemma_rms_norm_aot.py:34:44
	s_and_saveexec_b64 s[18:19], s[28:29]
	s_cbranch_execz .LBB0_10
; %bb.9:
	.loc	1 34 32 is_stmt 0               ; gemma_rms_norm_aot.py:34:32
	v_mul_lo_u32 v6, v13, s13
	.loc	1 34 25                         ; gemma_rms_norm_aot.py:34:25
	v_ashrrev_i32_e32 v7, 31, v6
	v_lshl_add_u64 v[6:7], v[6:7], 1, s[30:31]
	.loc	1 34 44                         ; gemma_rms_norm_aot.py:34:44
	global_load_ushort v18, v[6:7], off
.LBB0_10:
	;; [unrolled: 39-line block ×3, first 2 shown]
	.loc	1 0 44                          ; gemma_rms_norm_aot.py:0:44
	s_or_b64 exec, exec, s[22:23]
	.loc	1 32 24 is_stmt 1               ; gemma_rms_norm_aot.py:32:24
	v_or_b32_e32 v17, 0x700, v1
	.loc	1 32 38 is_stmt 0               ; gemma_rms_norm_aot.py:32:38
	v_cmp_gt_i32_e64 s[22:23], s14, v17
	.loc	1 34 44 is_stmt 1               ; gemma_rms_norm_aot.py:34:44
	s_and_saveexec_b64 s[34:35], s[22:23]
	s_cbranch_execz .LBB0_16
; %bb.15:
	.loc	1 34 32 is_stmt 0               ; gemma_rms_norm_aot.py:34:32
	v_mul_lo_u32 v6, v17, s13
	.loc	1 34 25                         ; gemma_rms_norm_aot.py:34:25
	v_ashrrev_i32_e32 v7, 31, v6
	v_lshl_add_u64 v[6:7], v[6:7], 1, s[30:31]
	.loc	1 34 44                         ; gemma_rms_norm_aot.py:34:44
	global_load_ushort v21, v[6:7], off
.LBB0_16:
	.loc	1 0 44                          ; gemma_rms_norm_aot.py:0:44
	s_or_b64 exec, exec, s[34:35]
	.loc	1 34 64                         ; gemma_rms_norm_aot.py:34:64
	s_waitcnt vmcnt(0)
	v_lshlrev_b32_e32 v9, 16, v3
	v_lshlrev_b32_e32 v8, 16, v2
	;; [unrolled: 1-line block ×6, first 2 shown]
	.loc	1 36 21 is_stmt 1               ; gemma_rms_norm_aot.py:36:21
	v_pk_mul_f32 v[18:19], v[8:9], v[8:9]
	.loc	1 34 64                         ; gemma_rms_norm_aot.py:34:64
	v_lshlrev_b32_e32 v3, 16, v21
	v_lshlrev_b32_e32 v2, 16, v20
	.loc	1 36 21                         ; gemma_rms_norm_aot.py:36:21
	v_pk_mul_f32 v[20:21], v[6:7], v[6:7]
.Ltmp2:
	.file	2 "/root/.local/lib/python3.13/site-packages/triton/language" "standard.py"
	.loc	2 263 15                        ; standard.py:263:15 @[ standard.py:293:36 @[ gemma_rms_norm_aot.py:36:17 ] ]
	v_add_f32_e32 v18, v18, v19
	v_add_f32_e32 v18, v18, v20
.Ltmp3:
	.loc	1 36 21                         ; gemma_rms_norm_aot.py:36:21
	v_pk_mul_f32 v[22:23], v[4:5], v[4:5]
.Ltmp4:
	.loc	2 263 15                        ; standard.py:263:15 @[ standard.py:293:36 @[ gemma_rms_norm_aot.py:36:17 ] ]
	v_add_f32_e32 v18, v18, v21
	v_add_f32_e32 v18, v18, v22
.Ltmp5:
	.loc	1 36 21                         ; gemma_rms_norm_aot.py:36:21
	v_pk_mul_f32 v[24:25], v[2:3], v[2:3]
.Ltmp6:
	.loc	2 263 15                        ; standard.py:263:15 @[ standard.py:293:36 @[ gemma_rms_norm_aot.py:36:17 ] ]
	v_add_f32_e32 v18, v18, v23
	v_add_f32_e32 v18, v18, v24
	;; [unrolled: 1-line block ×3, first 2 shown]
.Ltmp7:
	.loc	2 293 36                        ; standard.py:293:36 @[ gemma_rms_norm_aot.py:36:17 ]
	v_cmp_eq_u32_e32 vcc, 0, v10
.Ltmp8:
	.loc	2 263 15                        ; standard.py:263:15 @[ standard.py:293:36 @[ gemma_rms_norm_aot.py:36:17 ] ]
	s_nop 0
	v_add_f32_dpp v18, v18, v18 row_shr:8 row_mask:0xf bank_mask:0xf bound_ctrl:1
	s_nop 1
	v_add_f32_dpp v18, v18, v18 row_shr:4 row_mask:0xf bank_mask:0xf bound_ctrl:1
	;; [unrolled: 2-line block ×4, first 2 shown]
.Ltmp9:
	.loc	2 293 36                        ; standard.py:293:36 @[ gemma_rms_norm_aot.py:36:17 ]
	v_mov_b32_e32 v19, v18
	s_nop 1
	v_mov_b32_dpp v19, v19 row_bcast:15 row_mask:0xa bank_mask:0xf bound_ctrl:1
.Ltmp10:
	.loc	2 263 15                        ; standard.py:263:15 @[ standard.py:293:36 @[ gemma_rms_norm_aot.py:36:17 ] ]
	v_add_f32_e32 v18, v19, v18
	s_nop 1
	v_add_f32_dpp v18, v18, v18 row_bcast:31 row_mask:0xf bank_mask:0xf bound_ctrl:1
.Ltmp11:
	.loc	2 293 36                        ; standard.py:293:36 @[ gemma_rms_norm_aot.py:36:17 ]
	s_nop 0
	v_readlane_b32 s11, v18, 63
	s_and_saveexec_b64 s[12:13], vcc
	s_cbranch_execz .LBB0_18
; %bb.17:
	.loc	2 0 36 is_stmt 0                ; standard.py:0:36
	s_lshr_b32 s30, s33, 4
	s_and_b32 s30, s30, 12
	s_add_i32 s30, s30, 0
	.loc	2 293 36                        ; standard.py:293:36 @[ gemma_rms_norm_aot.py:36:17 ]
	v_mov_b32_e32 v18, s30
	v_mov_b32_e32 v19, s11
	ds_write_b32 v18, v19
.LBB0_18:
	.loc	2 0 36                          ; standard.py:0:36
	s_or_b64 exec, exec, s[12:13]
	.loc	2 293 36                        ; standard.py:293:36 @[ gemma_rms_norm_aot.py:36:17 ]
	v_cmp_gt_u32_e32 vcc, 4, v0
	v_lshl_add_u32 v18, v0, 2, 0
.Ltmp12:
	.loc	1 36 17 is_stmt 1               ; gemma_rms_norm_aot.py:36:17
	v_mov_b32_e32 v19, 0
.Ltmp13:
	.loc	2 293 36                        ; standard.py:293:36 @[ gemma_rms_norm_aot.py:36:17 ]
	s_waitcnt lgkmcnt(0)
	s_barrier
	s_and_saveexec_b64 s[12:13], vcc
; %bb.19:
	ds_read_b32 v19, v18
; %bb.20:
	.loc	2 0 36 is_stmt 0                ; standard.py:0:36
	s_or_b64 exec, exec, s[12:13]
	.loc	2 293 36                        ; standard.py:293:36 @[ gemma_rms_norm_aot.py:36:17 ]
	s_waitcnt lgkmcnt(0)
	v_mov_b32_e32 v20, v19
	v_and_b32_e32 v0, 3, v0
	v_cmp_eq_u32_e64 s[12:13], 0, v0
	v_mov_b32_dpp v20, v20 quad_perm:[2,3,0,1] row_mask:0xf bank_mask:0xf
.Ltmp14:
	.loc	2 263 15 is_stmt 1              ; standard.py:263:15 @[ standard.py:293:36 @[ gemma_rms_norm_aot.py:36:17 ] ]
	v_add_f32_e32 v19, v19, v20
.Ltmp15:
	.loc	2 293 36                        ; standard.py:293:36 @[ gemma_rms_norm_aot.py:36:17 ]
	v_mov_b32_e32 v20, v19
	s_and_b64 s[30:31], vcc, s[12:13]
	s_nop 0
	v_mov_b32_dpp v20, v20 quad_perm:[1,0,3,2] row_mask:0xf bank_mask:0xf
	s_and_saveexec_b64 s[12:13], s[30:31]
; %bb.21:
	.loc	2 0 36 is_stmt 0                ; standard.py:0:36
	v_add_f32_e32 v0, v19, v20
	.loc	2 293 36                        ; standard.py:293:36 @[ gemma_rms_norm_aot.py:36:17 ]
	ds_write_b32 v18, v0
.Ltmp16:
; %bb.22:
	.loc	2 0 36                          ; standard.py:0:36
	s_or_b64 exec, exec, s[12:13]
	.loc	1 41 16 is_stmt 1               ; gemma_rms_norm_aot.py:41:16
	v_bfrev_b32_e32 v18, 1
	v_lshlrev_b32_e32 v19, 1, v12
	v_cndmask_b32_e64 v24, v18, v19, s[6:7]
	v_lshlrev_b32_e32 v19, 1, v11
	.loc	1 29 21                         ; gemma_rms_norm_aot.py:29:21
	s_mul_i32 s10, s10, s16
	.loc	1 41 16                         ; gemma_rms_norm_aot.py:41:16
	v_cndmask_b32_e64 v25, v18, v19, s[24:25]
	v_lshlrev_b32_e32 v19, 1, v14
	.loc	1 29 15                         ; gemma_rms_norm_aot.py:29:15
	s_ashr_i32 s11, s10, 31
	.loc	1 41 16                         ; gemma_rms_norm_aot.py:41:16
	v_cndmask_b32_e64 v26, v18, v19, s[26:27]
	v_lshlrev_b32_e32 v19, 1, v13
	.loc	1 29 15                         ; gemma_rms_norm_aot.py:29:15
	s_lshl_b64 s[10:11], s[10:11], 1
	.loc	1 41 16                         ; gemma_rms_norm_aot.py:41:16
	v_cndmask_b32_e64 v27, v18, v19, s[28:29]
	v_lshlrev_b32_e32 v19, 1, v16
	.loc	1 29 15                         ; gemma_rms_norm_aot.py:29:15
	s_add_u32 s2, s2, s10
	.loc	1 41 16                         ; gemma_rms_norm_aot.py:41:16
	v_lshlrev_b32_e32 v0, 1, v1
	v_cndmask_b32_e64 v28, v18, v19, s[20:21]
	v_lshlrev_b32_e32 v19, 1, v15
	.loc	1 29 15                         ; gemma_rms_norm_aot.py:29:15
	s_addc_u32 s3, s3, s11
	.loc	1 41 16                         ; gemma_rms_norm_aot.py:41:16
	s_and_b32 s9, s9, 0xffff
	s_mov_b32 s11, 0x27000
	s_mov_b32 s10, 0x7ffffffe
	v_cndmask_b32_e64 v0, v18, v0, s[0:1]
	v_cndmask_b32_e64 v29, v18, v19, s[18:19]
	v_lshlrev_b32_e32 v19, 1, v17
.Ltmp17:
	.loc	2 293 36                        ; standard.py:293:36 @[ gemma_rms_norm_aot.py:36:17 ]
	s_waitcnt lgkmcnt(0)
	s_barrier
.Ltmp18:
	.loc	1 41 16                         ; gemma_rms_norm_aot.py:41:16
	v_cndmask_b32_e64 v30, v18, v19, s[22:23]
	buffer_load_ushort v31, v0, s[8:11], 0 offen
	buffer_load_ushort v32, v24, s[8:11], 0 offen
	;; [unrolled: 1-line block ×8, first 2 shown]
.Ltmp19:
	.loc	2 293 36                        ; standard.py:293:36 @[ gemma_rms_norm_aot.py:36:17 ]
	v_mov_b32_e32 v0, 0
	ds_read_b32 v0, v0
.Ltmp20:
	.loc	1 36 34                         ; gemma_rms_norm_aot.py:36:34
	v_cvt_f32_i32_e32 v24, s14
	s_waitcnt lgkmcnt(0)
	v_div_scale_f32 v25, s[8:9], v24, v24, v0
	v_rcp_f32_e32 v26, v25
	v_div_scale_f32 v27, vcc, v0, v24, v0
	v_fma_f32 v28, -v25, v26, 1.0
	v_fmac_f32_e32 v26, v28, v26
	v_mul_f32_e32 v28, v27, v26
	v_fma_f32 v29, -v25, v28, v27
	v_fmac_f32_e32 v28, v29, v26
	v_fma_f32 v25, -v25, v28, v27
	v_div_fmas_f32 v25, v25, v26, v28
	v_div_fixup_f32 v0, v25, v24, v0
	.loc	1 37 29                         ; gemma_rms_norm_aot.py:37:29
	v_add_f32_e32 v0, s15, v0
	.loc	1 37 23 is_stmt 0               ; gemma_rms_norm_aot.py:37:23
	v_sqrt_f32_e32 v0, v0
	.loc	1 37 15                         ; gemma_rms_norm_aot.py:37:15
	s_nop 0
	v_div_scale_f32 v24, s[8:9], v0, v0, 1.0
	v_rcp_f32_e32 v25, v24
	v_div_scale_f32 v26, vcc, 1.0, v0, 1.0
	v_fma_f32 v27, -v24, v25, 1.0
	v_fmac_f32_e32 v25, v27, v25
	v_mul_f32_e32 v27, v26, v25
	v_fma_f32 v28, -v24, v27, v26
	v_fmac_f32_e32 v27, v28, v25
	v_fma_f32 v24, -v24, v27, v26
	v_div_fmas_f32 v24, v24, v25, v27
	v_div_fixup_f32 v0, v24, v0, 1.0
	.loc	1 42 13 is_stmt 1               ; gemma_rms_norm_aot.py:42:13
	v_pk_mul_f32 v[8:9], v[0:1], v[8:9] op_sel_hi:[0,1]
	.loc	1 41 75                         ; gemma_rms_norm_aot.py:41:75
	s_waitcnt vmcnt(7)
	v_lshlrev_b32_e32 v24, 16, v31
	s_waitcnt vmcnt(6)
	v_lshlrev_b32_e32 v25, 16, v32
	.loc	1 42 27                         ; gemma_rms_norm_aot.py:42:27
	v_pk_add_f32 v[24:25], v[24:25], 1.0 op_sel_hi:[1,0]
	.loc	1 42 21 is_stmt 0               ; gemma_rms_norm_aot.py:42:21
	s_nop 0
	v_pk_mul_f32 v[8:9], v[8:9], v[24:25]
	.loc	1 43 42 is_stmt 1               ; gemma_rms_norm_aot.py:43:42
	s_and_saveexec_b64 s[8:9], s[0:1]
	s_cbranch_execz .LBB0_24
; %bb.23:
	.loc	1 0 42 is_stmt 0                ; gemma_rms_norm_aot.py:0:42
	v_mul_lo_u32 v24, v1, s17
	v_ashrrev_i32_e32 v25, 31, v24
	v_lshl_add_u64 v[24:25], v[24:25], 1, s[2:3]
	v_cvt_pk_bf16_f32 v1, v8, s0
	.loc	1 43 42                         ; gemma_rms_norm_aot.py:43:42
	global_store_short v[24:25], v1, off
.LBB0_24:
	.loc	1 0 42                          ; gemma_rms_norm_aot.py:0:42
	s_or_b64 exec, exec, s[8:9]
	v_mov_b32_e32 v1, v0
	.loc	1 43 42                         ; gemma_rms_norm_aot.py:43:42
	s_and_saveexec_b64 s[0:1], s[6:7]
	s_cbranch_execz .LBB0_26
; %bb.25:
	.loc	1 43 30                         ; gemma_rms_norm_aot.py:43:30
	v_mul_lo_u32 v24, v12, s17
	.loc	1 43 23                         ; gemma_rms_norm_aot.py:43:23
	v_ashrrev_i32_e32 v25, 31, v24
	v_lshl_add_u64 v[24:25], v[24:25], 1, s[2:3]
	v_cvt_pk_bf16_f32 v8, v9, s0
	.loc	1 43 42                         ; gemma_rms_norm_aot.py:43:42
	global_store_short v[24:25], v8, off
.LBB0_26:
	.loc	1 0 42                          ; gemma_rms_norm_aot.py:0:42
	s_or_b64 exec, exec, s[0:1]
	.loc	1 41 75 is_stmt 1               ; gemma_rms_norm_aot.py:41:75
	s_waitcnt vmcnt(4)
	v_lshlrev_b32_e32 v9, 16, v23
	v_lshlrev_b32_e32 v8, 16, v22
	.loc	1 42 13                         ; gemma_rms_norm_aot.py:42:13
	v_pk_mul_f32 v[6:7], v[0:1], v[6:7]
	.loc	1 42 27 is_stmt 0               ; gemma_rms_norm_aot.py:42:27
	v_pk_add_f32 v[8:9], v[8:9], 1.0 op_sel_hi:[1,0]
	.loc	1 42 21                         ; gemma_rms_norm_aot.py:42:21
	s_nop 0
	v_pk_mul_f32 v[6:7], v[6:7], v[8:9]
	.loc	1 43 42 is_stmt 1               ; gemma_rms_norm_aot.py:43:42
	s_and_saveexec_b64 s[0:1], s[24:25]
	s_cbranch_execz .LBB0_28
; %bb.27:
	.loc	1 43 30 is_stmt 0               ; gemma_rms_norm_aot.py:43:30
	v_mul_lo_u32 v8, v11, s17
	.loc	1 43 23                         ; gemma_rms_norm_aot.py:43:23
	v_ashrrev_i32_e32 v9, 31, v8
	v_lshl_add_u64 v[8:9], v[8:9], 1, s[2:3]
	v_cvt_pk_bf16_f32 v6, v6, s0
	.loc	1 43 42                         ; gemma_rms_norm_aot.py:43:42
	global_store_short v[8:9], v6, off
.LBB0_28:
	.loc	1 0 42                          ; gemma_rms_norm_aot.py:0:42
	s_or_b64 exec, exec, s[0:1]
	.loc	1 43 42                         ; gemma_rms_norm_aot.py:43:42
	s_and_saveexec_b64 s[0:1], s[26:27]
	s_cbranch_execz .LBB0_30
; %bb.29:
	.loc	1 43 30                         ; gemma_rms_norm_aot.py:43:30
	v_mul_lo_u32 v8, v14, s17
	.loc	1 43 23                         ; gemma_rms_norm_aot.py:43:23
	v_ashrrev_i32_e32 v9, 31, v8
	v_lshl_add_u64 v[8:9], v[8:9], 1, s[2:3]
	v_cvt_pk_bf16_f32 v6, v7, s0
	.loc	1 43 42                         ; gemma_rms_norm_aot.py:43:42
	global_store_short v[8:9], v6, off
.LBB0_30:
	.loc	1 0 42                          ; gemma_rms_norm_aot.py:0:42
	s_or_b64 exec, exec, s[0:1]
	.loc	1 41 75 is_stmt 1               ; gemma_rms_norm_aot.py:41:75
	s_waitcnt vmcnt(2)
	v_lshlrev_b32_e32 v7, 16, v21
	v_lshlrev_b32_e32 v6, 16, v20
	.loc	1 42 13                         ; gemma_rms_norm_aot.py:42:13
	v_pk_mul_f32 v[4:5], v[0:1], v[4:5]
	.loc	1 42 27 is_stmt 0               ; gemma_rms_norm_aot.py:42:27
	v_pk_add_f32 v[6:7], v[6:7], 1.0 op_sel_hi:[1,0]
	.loc	1 42 21                         ; gemma_rms_norm_aot.py:42:21
	s_nop 0
	v_pk_mul_f32 v[4:5], v[4:5], v[6:7]
	.loc	1 43 42 is_stmt 1               ; gemma_rms_norm_aot.py:43:42
	s_and_saveexec_b64 s[0:1], s[28:29]
	s_cbranch_execz .LBB0_32
; %bb.31:
	.loc	1 43 30 is_stmt 0               ; gemma_rms_norm_aot.py:43:30
	v_mul_lo_u32 v6, v13, s17
	.loc	1 43 23                         ; gemma_rms_norm_aot.py:43:23
	v_ashrrev_i32_e32 v7, 31, v6
	v_lshl_add_u64 v[6:7], v[6:7], 1, s[2:3]
	v_cvt_pk_bf16_f32 v4, v4, s0
	.loc	1 43 42                         ; gemma_rms_norm_aot.py:43:42
	global_store_short v[6:7], v4, off
.LBB0_32:
	.loc	1 0 42                          ; gemma_rms_norm_aot.py:0:42
	s_or_b64 exec, exec, s[0:1]
	;; [unrolled: 41-line block ×3, first 2 shown]
	.loc	1 43 42                         ; gemma_rms_norm_aot.py:43:42
	s_and_saveexec_b64 s[0:1], s[22:23]
	s_cbranch_execz .LBB0_38
; %bb.37:
	.loc	1 43 30                         ; gemma_rms_norm_aot.py:43:30
	v_mul_lo_u32 v4, v17, s17
	.loc	1 43 23                         ; gemma_rms_norm_aot.py:43:23
	v_ashrrev_i32_e32 v5, 31, v4
	v_lshl_add_u64 v[4:5], v[4:5], 1, s[2:3]
	v_cvt_pk_bf16_f32 v1, v3, s0
	.loc	1 43 42                         ; gemma_rms_norm_aot.py:43:42
	global_store_short v[4:5], v1, off
.LBB0_38:
	.loc	1 0 42                          ; gemma_rms_norm_aot.py:0:42
	s_or_b64 exec, exec, s[0:1]
	.loc	1 44 28 is_stmt 1               ; gemma_rms_norm_aot.py:44:28
	s_lshr_b32 s0, s33, 6
	v_or_b32_e32 v1, s0, v10
	v_cmp_eq_u32_e32 vcc, 0, v1
	s_and_saveexec_b64 s[0:1], vcc
	s_cbranch_execz .LBB0_40
; %bb.39:
	.loc	1 0 28 is_stmt 0                ; gemma_rms_norm_aot.py:0:28
	s_ashr_i32 s17, s16, 31
	s_lshl_b64 s[0:1], s[16:17], 2
	s_add_u32 s0, s4, s0
	s_addc_u32 s1, s5, s1
	v_mov_b32_e32 v1, 0
	.loc	1 44 28                         ; gemma_rms_norm_aot.py:44:28
	global_store_dword v1, v0, s[0:1]
.LBB0_40:
	.loc	1 44 4                          ; gemma_rms_norm_aot.py:44:4
	s_endpgm
.Ltmp21:
	.section	.rodata,"a",@progbits
	.p2align	6, 0x0
	.amdhsa_kernel gemma_rms_norm_kernel
		.amdhsa_group_segment_fixed_size 0
		.amdhsa_private_segment_fixed_size 0
		.amdhsa_kernarg_size 72
		.amdhsa_user_sgpr_count 16
		.amdhsa_user_sgpr_dispatch_ptr 0
		.amdhsa_user_sgpr_queue_ptr 0
		.amdhsa_user_sgpr_kernarg_segment_ptr 1
		.amdhsa_user_sgpr_dispatch_id 0
		.amdhsa_user_sgpr_kernarg_preload_length 14
		.amdhsa_user_sgpr_kernarg_preload_offset 0
		.amdhsa_user_sgpr_private_segment_size 0
		.amdhsa_uses_dynamic_stack 0
		.amdhsa_enable_private_segment 0
		.amdhsa_system_sgpr_workgroup_id_x 1
		.amdhsa_system_sgpr_workgroup_id_y 0
		.amdhsa_system_sgpr_workgroup_id_z 0
		.amdhsa_system_sgpr_workgroup_info 0
		.amdhsa_system_vgpr_workitem_id 0
		.amdhsa_next_free_vgpr 33
		.amdhsa_next_free_sgpr 36
		.amdhsa_accum_offset 36
		.amdhsa_reserve_vcc 1
		.amdhsa_reserve_xnack_mask 1
		.amdhsa_float_round_mode_32 0
		.amdhsa_float_round_mode_16_64 0
		.amdhsa_float_denorm_mode_32 3
		.amdhsa_float_denorm_mode_16_64 3
		.amdhsa_dx10_clamp 1
		.amdhsa_ieee_mode 1
		.amdhsa_fp16_overflow 0
		.amdhsa_tg_split 0
		.amdhsa_exception_fp_ieee_invalid_op 0
		.amdhsa_exception_fp_denorm_src 0
		.amdhsa_exception_fp_ieee_div_zero 0
		.amdhsa_exception_fp_ieee_overflow 0
		.amdhsa_exception_fp_ieee_underflow 0
		.amdhsa_exception_fp_ieee_inexact 0
		.amdhsa_exception_int_div_zero 0
	.end_amdhsa_kernel
	.text
.Lfunc_end0:
	.size	gemma_rms_norm_kernel, .Lfunc_end0-gemma_rms_norm_kernel
	.cfi_endproc
                                        ; -- End function
	.set gemma_rms_norm_kernel.num_vgpr, 33
	.set gemma_rms_norm_kernel.num_agpr, 0
	.set gemma_rms_norm_kernel.numbered_sgpr, 36
	.set gemma_rms_norm_kernel.num_named_barrier, 0
	.set gemma_rms_norm_kernel.private_seg_size, 0
	.set gemma_rms_norm_kernel.uses_vcc, 1
	.set gemma_rms_norm_kernel.uses_flat_scratch, 0
	.set gemma_rms_norm_kernel.has_dyn_sized_stack, 0
	.set gemma_rms_norm_kernel.has_recursion, 0
	.set gemma_rms_norm_kernel.has_indirect_call, 0
	.section	.AMDGPU.csdata,"",@progbits
; Kernel info:
; codeLenInByte = 2112
; TotalNumSgprs: 42
; NumVgprs: 33
; NumAgprs: 0
; TotalNumVgprs: 33
; ScratchSize: 0
; MemoryBound: 0
; FloatMode: 240
; IeeeMode: 1
; LDSByteSize: 0 bytes/workgroup (compile time only)
; SGPRBlocks: 5
; VGPRBlocks: 4
; NumSGPRsForWavesPerEU: 42
; NumVGPRsForWavesPerEU: 33
; AccumOffset: 36
; Occupancy: 8
; WaveLimiterHint : 0
; COMPUTE_PGM_RSRC2:SCRATCH_EN: 0
; COMPUTE_PGM_RSRC2:USER_SGPR: 16
; COMPUTE_PGM_RSRC2:TRAP_HANDLER: 0
; COMPUTE_PGM_RSRC2:TGID_X_EN: 1
; COMPUTE_PGM_RSRC2:TGID_Y_EN: 0
; COMPUTE_PGM_RSRC2:TGID_Z_EN: 0
; COMPUTE_PGM_RSRC2:TIDIG_COMP_CNT: 0
; COMPUTE_PGM_RSRC3_GFX90A:ACCUM_OFFSET: 8
; COMPUTE_PGM_RSRC3_GFX90A:TG_SPLIT: 0
	.text
	.p2alignl 6, 3212836864
	.fill 256, 4, 3212836864
	.section	.AMDGPU.gpr_maximums,"",@progbits
	.set amdgpu.max_num_vgpr, 0
	.set amdgpu.max_num_agpr, 0
	.set amdgpu.max_num_sgpr, 0
	.set amdgpu.max_num_named_barrier, 0
	.text
	.section	.debug_abbrev,"",@progbits
	.byte	1                               ; Abbreviation Code
	.byte	17                              ; DW_TAG_compile_unit
	.byte	1                               ; DW_CHILDREN_yes
	.byte	37                              ; DW_AT_producer
	.byte	14                              ; DW_FORM_strp
	.byte	19                              ; DW_AT_language
	.byte	5                               ; DW_FORM_data2
	.byte	3                               ; DW_AT_name
	.byte	14                              ; DW_FORM_strp
	.byte	16                              ; DW_AT_stmt_list
	.byte	23                              ; DW_FORM_sec_offset
	.byte	27                              ; DW_AT_comp_dir
	.byte	14                              ; DW_FORM_strp
	.byte	17                              ; DW_AT_low_pc
	.byte	1                               ; DW_FORM_addr
	.byte	18                              ; DW_AT_high_pc
	.byte	6                               ; DW_FORM_data4
	.byte	0                               ; EOM(1)
	.byte	0                               ; EOM(2)
	.byte	2                               ; Abbreviation Code
	.byte	46                              ; DW_TAG_subprogram
	.byte	0                               ; DW_CHILDREN_no
	.byte	3                               ; DW_AT_name
	.byte	14                              ; DW_FORM_strp
	.byte	32                              ; DW_AT_inline
	.byte	11                              ; DW_FORM_data1
	.byte	0                               ; EOM(1)
	.byte	0                               ; EOM(2)
	.byte	3                               ; Abbreviation Code
	.byte	46                              ; DW_TAG_subprogram
	.byte	1                               ; DW_CHILDREN_yes
	.byte	17                              ; DW_AT_low_pc
	.byte	1                               ; DW_FORM_addr
	.byte	18                              ; DW_AT_high_pc
	.byte	6                               ; DW_FORM_data4
	.byte	49                              ; DW_AT_abstract_origin
	.byte	19                              ; DW_FORM_ref4
	.byte	0                               ; EOM(1)
	.byte	0                               ; EOM(2)
	.byte	4                               ; Abbreviation Code
	.byte	29                              ; DW_TAG_inlined_subroutine
	.byte	1                               ; DW_CHILDREN_yes
	.byte	49                              ; DW_AT_abstract_origin
	.byte	19                              ; DW_FORM_ref4
	.byte	85                              ; DW_AT_ranges
	.byte	23                              ; DW_FORM_sec_offset
	.byte	88                              ; DW_AT_call_file
	.byte	11                              ; DW_FORM_data1
	.byte	89                              ; DW_AT_call_line
	.byte	11                              ; DW_FORM_data1
	.byte	87                              ; DW_AT_call_column
	.byte	11                              ; DW_FORM_data1
	.byte	0                               ; EOM(1)
	.byte	0                               ; EOM(2)
	.byte	5                               ; Abbreviation Code
	.byte	29                              ; DW_TAG_inlined_subroutine
	.byte	0                               ; DW_CHILDREN_no
	.byte	49                              ; DW_AT_abstract_origin
	.byte	19                              ; DW_FORM_ref4
	.byte	85                              ; DW_AT_ranges
	.byte	23                              ; DW_FORM_sec_offset
	.byte	88                              ; DW_AT_call_file
	.byte	11                              ; DW_FORM_data1
	.byte	89                              ; DW_AT_call_line
	.byte	5                               ; DW_FORM_data2
	.byte	87                              ; DW_AT_call_column
	.byte	11                              ; DW_FORM_data1
	.byte	0                               ; EOM(1)
	.byte	0                               ; EOM(2)
	;; [unrolled: 1-line block ×3, first 2 shown]
	.section	.debug_info,"",@progbits
.Lcu_begin0:
	.long	.Ldebug_info_end0-.Ldebug_info_start0 ; Length of Unit
.Ldebug_info_start0:
	.short	4                               ; DWARF version number
	.long	.debug_abbrev                   ; Offset Into Abbrev. Section
	.byte	8                               ; Address Size (in bytes)
	.byte	1                               ; Abbrev [1] 0xb:0x52 DW_TAG_compile_unit
	.long	.Linfo_string0                  ; DW_AT_producer
	.short	2                               ; DW_AT_language
	.long	.Linfo_string1                  ; DW_AT_name
	.long	.Lline_table_start0             ; DW_AT_stmt_list
	.long	.Linfo_string2                  ; DW_AT_comp_dir
	.quad	.Lfunc_begin0                   ; DW_AT_low_pc
	.long	.Lfunc_end0-.Lfunc_begin0       ; DW_AT_high_pc
	.byte	2                               ; Abbrev [2] 0x2a:0x6 DW_TAG_subprogram
	.long	.Linfo_string3                  ; DW_AT_name
	.byte	1                               ; DW_AT_inline
	.byte	3                               ; Abbrev [3] 0x30:0x2c DW_TAG_subprogram
	.quad	.Lfunc_begin0                   ; DW_AT_low_pc
	.long	.Lfunc_end0-.Lfunc_begin0       ; DW_AT_high_pc
	.long	42                              ; DW_AT_abstract_origin
	.byte	4                               ; Abbrev [4] 0x41:0x1a DW_TAG_inlined_subroutine
	.long	42                              ; DW_AT_abstract_origin
	.long	.Ldebug_ranges0                 ; DW_AT_ranges
	.byte	1                               ; DW_AT_call_file
	.byte	36                              ; DW_AT_call_line
	.byte	17                              ; DW_AT_call_column
	.byte	5                               ; Abbrev [5] 0x4d:0xd DW_TAG_inlined_subroutine
	.long	42                              ; DW_AT_abstract_origin
	.long	.Ldebug_ranges1                 ; DW_AT_ranges
	.byte	2                               ; DW_AT_call_file
	.short	293                             ; DW_AT_call_line
	.byte	36                              ; DW_AT_call_column
	.byte	0                               ; End Of Children Mark
	.byte	0                               ; End Of Children Mark
	;; [unrolled: 1-line block ×3, first 2 shown]
.Ldebug_info_end0:
	.section	.debug_ranges,"",@progbits
.Ldebug_ranges0:
	.quad	.Ltmp2-.Lfunc_begin0
	.quad	.Ltmp3-.Lfunc_begin0
	.quad	.Ltmp4-.Lfunc_begin0
	.quad	.Ltmp5-.Lfunc_begin0
	.quad	.Ltmp6-.Lfunc_begin0
	.quad	.Ltmp12-.Lfunc_begin0
	.quad	.Ltmp13-.Lfunc_begin0
	.quad	.Ltmp16-.Lfunc_begin0
	.quad	.Ltmp17-.Lfunc_begin0
	.quad	.Ltmp18-.Lfunc_begin0
	.quad	.Ltmp19-.Lfunc_begin0
	.quad	.Ltmp20-.Lfunc_begin0
	.quad	0
	.quad	0
.Ldebug_ranges1:
	.quad	.Ltmp2-.Lfunc_begin0
	.quad	.Ltmp3-.Lfunc_begin0
	;; [unrolled: 1-line block ×12, first 2 shown]
	.quad	0
	.quad	0
	.section	.debug_str,"MS",@progbits,1
.Linfo_string0:
	.asciz	"triton"                        ; string offset=0
.Linfo_string1:
	.asciz	"gemma_rms_norm_aot.py"         ; string offset=7
.Linfo_string2:
	.asciz	"/root/src/amdgpu-assembly/repos/FlagOpen__FlagGems/triton_aot_kernels" ; string offset=29
.Linfo_string3:
	.asciz	"gemma_rms_norm_kernel"         ; string offset=99
	.section	".note.GNU-stack","",@progbits
	.amdgpu_metadata
---
amdhsa.kernels:
  - .agpr_count:     0
    .args:
      - .address_space:  global
        .offset:         0
        .size:           8
        .value_kind:     global_buffer
      - .address_space:  global
        .offset:         8
        .size:           8
        .value_kind:     global_buffer
      - .address_space:  global
        .offset:         16
        .size:           8
        .value_kind:     global_buffer
      - .address_space:  global
        .offset:         24
        .size:           8
        .value_kind:     global_buffer
      - .offset:         32
        .size:           4
        .value_kind:     by_value
      - .offset:         36
        .size:           4
        .value_kind:     by_value
      - .offset:         40
        .size:           4
        .value_kind:     by_value
      - .offset:         44
        .size:           4
        .value_kind:     by_value
      - .offset:         48
        .size:           4
        .value_kind:     by_value
      - .offset:         52
        .size:           4
        .value_kind:     by_value
      - .address_space:  global
        .offset:         56
        .size:           8
        .value_kind:     global_buffer
      - .address_space:  global
        .offset:         64
        .size:           8
        .value_kind:     global_buffer
    .group_segment_fixed_size: 0
    .kernarg_segment_align: 8
    .kernarg_segment_size: 72
    .max_flat_workgroup_size: 256
    .name:           gemma_rms_norm_kernel
    .private_segment_fixed_size: 0
    .sgpr_count:     42
    .sgpr_spill_count: 0
    .symbol:         gemma_rms_norm_kernel.kd
    .uniform_work_group_size: 1
    .uses_dynamic_stack: false
    .vgpr_count:     33
    .vgpr_spill_count: 0
    .wavefront_size: 64
amdhsa.target:   amdgcn-amd-amdhsa--gfx950
amdhsa.version:
  - 1
  - 2
...

	.end_amdgpu_metadata
	.section	.debug_line,"",@progbits
.Lline_table_start0:
